;; amdgpu-corpus repo=ROCm/rocFFT kind=compiled arch=gfx906 opt=O3
	.text
	.amdgcn_target "amdgcn-amd-amdhsa--gfx906"
	.amdhsa_code_object_version 6
	.protected	fft_rtc_back_len160_factors_16_10_wgs_256_tpt_16_halfLds_dp_op_CI_CI_unitstride_sbrr_dirReg ; -- Begin function fft_rtc_back_len160_factors_16_10_wgs_256_tpt_16_halfLds_dp_op_CI_CI_unitstride_sbrr_dirReg
	.globl	fft_rtc_back_len160_factors_16_10_wgs_256_tpt_16_halfLds_dp_op_CI_CI_unitstride_sbrr_dirReg
	.p2align	8
	.type	fft_rtc_back_len160_factors_16_10_wgs_256_tpt_16_halfLds_dp_op_CI_CI_unitstride_sbrr_dirReg,@function
fft_rtc_back_len160_factors_16_10_wgs_256_tpt_16_halfLds_dp_op_CI_CI_unitstride_sbrr_dirReg: ; @fft_rtc_back_len160_factors_16_10_wgs_256_tpt_16_halfLds_dp_op_CI_CI_unitstride_sbrr_dirReg
; %bb.0:
	s_load_dwordx4 s[8:11], s[4:5], 0x58
	s_load_dwordx4 s[12:15], s[4:5], 0x0
	;; [unrolled: 1-line block ×3, first 2 shown]
	v_lshrrev_b32_e32 v82, 4, v0
	v_mov_b32_e32 v1, 0
	v_mov_b32_e32 v68, 0
	s_waitcnt lgkmcnt(0)
	v_cmp_lt_u64_e64 s[0:1], s[14:15], 2
	v_lshl_or_b32 v3, s6, 4, v82
	v_mov_b32_e32 v4, v1
	s_and_b64 vcc, exec, s[0:1]
	v_mov_b32_e32 v69, 0
	s_cbranch_vccnz .LBB0_8
; %bb.1:
	s_load_dwordx2 s[0:1], s[4:5], 0x10
	s_add_u32 s2, s18, 8
	s_addc_u32 s3, s19, 0
	s_add_u32 s6, s16, 8
	s_addc_u32 s7, s17, 0
	v_mov_b32_e32 v68, 0
	s_waitcnt lgkmcnt(0)
	s_add_u32 s20, s0, 8
	v_mov_b32_e32 v69, 0
	v_mov_b32_e32 v64, v68
	s_addc_u32 s21, s1, 0
	s_mov_b64 s[22:23], 1
	v_mov_b32_e32 v65, v69
.LBB0_2:                                ; =>This Inner Loop Header: Depth=1
	s_load_dwordx2 s[24:25], s[20:21], 0x0
                                        ; implicit-def: $vgpr66_vgpr67
	s_waitcnt lgkmcnt(0)
	v_or_b32_e32 v2, s25, v4
	v_cmp_ne_u64_e32 vcc, 0, v[1:2]
	s_and_saveexec_b64 s[0:1], vcc
	s_xor_b64 s[26:27], exec, s[0:1]
	s_cbranch_execz .LBB0_4
; %bb.3:                                ;   in Loop: Header=BB0_2 Depth=1
	v_cvt_f32_u32_e32 v2, s24
	v_cvt_f32_u32_e32 v5, s25
	s_sub_u32 s0, 0, s24
	s_subb_u32 s1, 0, s25
	v_mac_f32_e32 v2, 0x4f800000, v5
	v_rcp_f32_e32 v2, v2
	v_mul_f32_e32 v2, 0x5f7ffffc, v2
	v_mul_f32_e32 v5, 0x2f800000, v2
	v_trunc_f32_e32 v5, v5
	v_mac_f32_e32 v2, 0xcf800000, v5
	v_cvt_u32_f32_e32 v5, v5
	v_cvt_u32_f32_e32 v2, v2
	v_mul_lo_u32 v6, s0, v5
	v_mul_hi_u32 v7, s0, v2
	v_mul_lo_u32 v9, s1, v2
	v_mul_lo_u32 v8, s0, v2
	v_add_u32_e32 v6, v7, v6
	v_add_u32_e32 v6, v6, v9
	v_mul_hi_u32 v7, v2, v8
	v_mul_lo_u32 v9, v2, v6
	v_mul_hi_u32 v11, v2, v6
	v_mul_hi_u32 v10, v5, v8
	v_mul_lo_u32 v8, v5, v8
	v_mul_hi_u32 v12, v5, v6
	v_add_co_u32_e32 v7, vcc, v7, v9
	v_addc_co_u32_e32 v9, vcc, 0, v11, vcc
	v_mul_lo_u32 v6, v5, v6
	v_add_co_u32_e32 v7, vcc, v7, v8
	v_addc_co_u32_e32 v7, vcc, v9, v10, vcc
	v_addc_co_u32_e32 v8, vcc, 0, v12, vcc
	v_add_co_u32_e32 v6, vcc, v7, v6
	v_addc_co_u32_e32 v7, vcc, 0, v8, vcc
	v_add_co_u32_e32 v2, vcc, v2, v6
	v_addc_co_u32_e32 v5, vcc, v5, v7, vcc
	v_mul_lo_u32 v6, s0, v5
	v_mul_hi_u32 v7, s0, v2
	v_mul_lo_u32 v8, s1, v2
	v_mul_lo_u32 v9, s0, v2
	v_add_u32_e32 v6, v7, v6
	v_add_u32_e32 v6, v6, v8
	v_mul_lo_u32 v10, v2, v6
	v_mul_hi_u32 v11, v2, v9
	v_mul_hi_u32 v12, v2, v6
	v_mul_hi_u32 v8, v5, v9
	v_mul_lo_u32 v9, v5, v9
	v_mul_hi_u32 v7, v5, v6
	v_add_co_u32_e32 v10, vcc, v11, v10
	v_addc_co_u32_e32 v11, vcc, 0, v12, vcc
	v_mul_lo_u32 v6, v5, v6
	v_add_co_u32_e32 v9, vcc, v10, v9
	v_addc_co_u32_e32 v8, vcc, v11, v8, vcc
	v_addc_co_u32_e32 v7, vcc, 0, v7, vcc
	v_add_co_u32_e32 v6, vcc, v8, v6
	v_addc_co_u32_e32 v7, vcc, 0, v7, vcc
	v_add_co_u32_e32 v2, vcc, v2, v6
	v_addc_co_u32_e32 v7, vcc, v5, v7, vcc
	v_mad_u64_u32 v[5:6], s[0:1], v3, v7, 0
	v_mul_hi_u32 v8, v3, v2
	v_add_co_u32_e32 v9, vcc, v8, v5
	v_addc_co_u32_e32 v10, vcc, 0, v6, vcc
	v_mad_u64_u32 v[5:6], s[0:1], v4, v2, 0
	v_mad_u64_u32 v[7:8], s[0:1], v4, v7, 0
	v_add_co_u32_e32 v2, vcc, v9, v5
	v_addc_co_u32_e32 v2, vcc, v10, v6, vcc
	v_addc_co_u32_e32 v5, vcc, 0, v8, vcc
	v_add_co_u32_e32 v2, vcc, v2, v7
	v_addc_co_u32_e32 v7, vcc, 0, v5, vcc
	v_mul_lo_u32 v8, s25, v2
	v_mul_lo_u32 v9, s24, v7
	v_mad_u64_u32 v[5:6], s[0:1], s24, v2, 0
	v_add3_u32 v6, v6, v9, v8
	v_sub_u32_e32 v8, v4, v6
	v_mov_b32_e32 v9, s25
	v_sub_co_u32_e32 v5, vcc, v3, v5
	v_subb_co_u32_e64 v8, s[0:1], v8, v9, vcc
	v_subrev_co_u32_e64 v9, s[0:1], s24, v5
	v_subbrev_co_u32_e64 v8, s[0:1], 0, v8, s[0:1]
	v_cmp_le_u32_e64 s[0:1], s25, v8
	v_cndmask_b32_e64 v10, 0, -1, s[0:1]
	v_cmp_le_u32_e64 s[0:1], s24, v9
	v_cndmask_b32_e64 v9, 0, -1, s[0:1]
	v_cmp_eq_u32_e64 s[0:1], s25, v8
	v_cndmask_b32_e64 v8, v10, v9, s[0:1]
	v_add_co_u32_e64 v9, s[0:1], 2, v2
	v_addc_co_u32_e64 v10, s[0:1], 0, v7, s[0:1]
	v_add_co_u32_e64 v11, s[0:1], 1, v2
	v_addc_co_u32_e64 v12, s[0:1], 0, v7, s[0:1]
	v_subb_co_u32_e32 v6, vcc, v4, v6, vcc
	v_cmp_ne_u32_e64 s[0:1], 0, v8
	v_cmp_le_u32_e32 vcc, s25, v6
	v_cndmask_b32_e64 v8, v12, v10, s[0:1]
	v_cndmask_b32_e64 v10, 0, -1, vcc
	v_cmp_le_u32_e32 vcc, s24, v5
	v_cndmask_b32_e64 v5, 0, -1, vcc
	v_cmp_eq_u32_e32 vcc, s25, v6
	v_cndmask_b32_e32 v5, v10, v5, vcc
	v_cmp_ne_u32_e32 vcc, 0, v5
	v_cndmask_b32_e64 v5, v11, v9, s[0:1]
	v_cndmask_b32_e32 v67, v7, v8, vcc
	v_cndmask_b32_e32 v66, v2, v5, vcc
.LBB0_4:                                ;   in Loop: Header=BB0_2 Depth=1
	s_andn2_saveexec_b64 s[0:1], s[26:27]
	s_cbranch_execz .LBB0_6
; %bb.5:                                ;   in Loop: Header=BB0_2 Depth=1
	v_cvt_f32_u32_e32 v2, s24
	s_sub_i32 s26, 0, s24
	v_mov_b32_e32 v67, v1
	v_rcp_iflag_f32_e32 v2, v2
	v_mul_f32_e32 v2, 0x4f7ffffe, v2
	v_cvt_u32_f32_e32 v2, v2
	v_mul_lo_u32 v5, s26, v2
	v_mul_hi_u32 v5, v2, v5
	v_add_u32_e32 v2, v2, v5
	v_mul_hi_u32 v2, v3, v2
	v_mul_lo_u32 v5, v2, s24
	v_add_u32_e32 v6, 1, v2
	v_sub_u32_e32 v5, v3, v5
	v_subrev_u32_e32 v7, s24, v5
	v_cmp_le_u32_e32 vcc, s24, v5
	v_cndmask_b32_e32 v5, v5, v7, vcc
	v_cndmask_b32_e32 v2, v2, v6, vcc
	v_add_u32_e32 v6, 1, v2
	v_cmp_le_u32_e32 vcc, s24, v5
	v_cndmask_b32_e32 v66, v2, v6, vcc
.LBB0_6:                                ;   in Loop: Header=BB0_2 Depth=1
	s_or_b64 exec, exec, s[0:1]
	v_mul_lo_u32 v2, v67, s24
	v_mul_lo_u32 v7, v66, s25
	v_mad_u64_u32 v[5:6], s[0:1], v66, s24, 0
	s_load_dwordx2 s[0:1], s[6:7], 0x0
	s_load_dwordx2 s[24:25], s[2:3], 0x0
	v_add3_u32 v2, v6, v7, v2
	v_sub_co_u32_e32 v3, vcc, v3, v5
	v_subb_co_u32_e32 v2, vcc, v4, v2, vcc
	s_waitcnt lgkmcnt(0)
	v_mul_lo_u32 v4, s0, v2
	v_mul_lo_u32 v5, s1, v3
	v_mad_u64_u32 v[68:69], s[0:1], s0, v3, v[68:69]
	v_mul_lo_u32 v2, s24, v2
	v_mul_lo_u32 v6, s25, v3
	v_mad_u64_u32 v[64:65], s[0:1], s24, v3, v[64:65]
	s_add_u32 s22, s22, 1
	s_addc_u32 s23, s23, 0
	s_add_u32 s2, s2, 8
	v_add3_u32 v65, v6, v65, v2
	s_addc_u32 s3, s3, 0
	v_mov_b32_e32 v2, s14
	s_add_u32 s6, s6, 8
	v_mov_b32_e32 v3, s15
	s_addc_u32 s7, s7, 0
	v_cmp_ge_u64_e32 vcc, s[22:23], v[2:3]
	s_add_u32 s20, s20, 8
	v_add3_u32 v69, v5, v69, v4
	s_addc_u32 s21, s21, 0
	s_cbranch_vccnz .LBB0_9
; %bb.7:                                ;   in Loop: Header=BB0_2 Depth=1
	v_mov_b32_e32 v3, v66
	v_mov_b32_e32 v4, v67
	s_branch .LBB0_2
.LBB0_8:
	v_mov_b32_e32 v64, v68
	v_mov_b32_e32 v67, v4
	;; [unrolled: 1-line block ×4, first 2 shown]
.LBB0_9:
	s_lshl_b64 s[14:15], s[14:15], 3
	s_load_dwordx2 s[0:1], s[4:5], 0x28
	s_add_u32 s2, s18, s14
	s_addc_u32 s3, s19, s15
	s_load_dwordx2 s[2:3], s[2:3], 0x0
	v_and_b32_e32 v81, 15, v0
	s_waitcnt lgkmcnt(0)
	v_cmp_gt_u64_e32 vcc, s[0:1], v[66:67]
	v_mov_b32_e32 v80, 0
                                        ; implicit-def: $vgpr14_vgpr15
                                        ; implicit-def: $vgpr22_vgpr23
                                        ; implicit-def: $vgpr18_vgpr19
                                        ; implicit-def: $vgpr6_vgpr7
                                        ; implicit-def: $vgpr26_vgpr27
                                        ; implicit-def: $vgpr30_vgpr31
                                        ; implicit-def: $vgpr10_vgpr11
                                        ; implicit-def: $vgpr46_vgpr47
                                        ; implicit-def: $vgpr42_vgpr43
                                        ; implicit-def: $vgpr54_vgpr55
                                        ; implicit-def: $vgpr50_vgpr51
                                        ; implicit-def: $vgpr62_vgpr63
                                        ; implicit-def: $vgpr58_vgpr59
                                        ; implicit-def: $vgpr38_vgpr39
                                        ; implicit-def: $vgpr34_vgpr35
                                        ; implicit-def: $vgpr2_vgpr3
	s_and_saveexec_b64 s[4:5], vcc
	s_cbranch_execz .LBB0_13
; %bb.10:
	v_cmp_gt_u32_e64 s[0:1], 10, v81
                                        ; implicit-def: $vgpr0_vgpr1
                                        ; implicit-def: $vgpr32_vgpr33
                                        ; implicit-def: $vgpr36_vgpr37
                                        ; implicit-def: $vgpr56_vgpr57
                                        ; implicit-def: $vgpr60_vgpr61
                                        ; implicit-def: $vgpr48_vgpr49
                                        ; implicit-def: $vgpr52_vgpr53
                                        ; implicit-def: $vgpr40_vgpr41
                                        ; implicit-def: $vgpr44_vgpr45
                                        ; implicit-def: $vgpr8_vgpr9
                                        ; implicit-def: $vgpr28_vgpr29
                                        ; implicit-def: $vgpr24_vgpr25
                                        ; implicit-def: $vgpr4_vgpr5
                                        ; implicit-def: $vgpr16_vgpr17
                                        ; implicit-def: $vgpr20_vgpr21
                                        ; implicit-def: $vgpr12_vgpr13
	s_and_saveexec_b64 s[6:7], s[0:1]
	s_cbranch_execz .LBB0_12
; %bb.11:
	s_add_u32 s0, s16, s14
	s_addc_u32 s1, s17, s15
	s_load_dwordx2 s[0:1], s[0:1], 0x0
	v_mov_b32_e32 v6, s9
	v_lshlrev_b64 v[2:3], 4, v[68:69]
	s_waitcnt lgkmcnt(0)
	v_mul_lo_u32 v4, s1, v66
	v_mul_lo_u32 v5, s0, v67
	v_mad_u64_u32 v[0:1], s[0:1], s0, v66, 0
	v_add3_u32 v1, v1, v5, v4
	v_lshlrev_b64 v[0:1], 4, v[0:1]
	v_add_co_u32_e64 v0, s[0:1], s8, v0
	v_addc_co_u32_e64 v1, s[0:1], v6, v1, s[0:1]
	v_add_co_u32_e64 v0, s[0:1], v0, v2
	v_addc_co_u32_e64 v1, s[0:1], v1, v3, s[0:1]
	v_lshlrev_b32_e32 v2, 4, v81
	v_add_co_u32_e64 v56, s[0:1], v0, v2
	v_addc_co_u32_e64 v57, s[0:1], 0, v1, s[0:1]
	global_load_dwordx4 v[0:3], v[56:57], off
	global_load_dwordx4 v[12:15], v[56:57], off offset:160
	global_load_dwordx4 v[20:23], v[56:57], off offset:320
	global_load_dwordx4 v[16:19], v[56:57], off offset:480
	global_load_dwordx4 v[4:7], v[56:57], off offset:640
	global_load_dwordx4 v[24:27], v[56:57], off offset:800
	global_load_dwordx4 v[32:35], v[56:57], off offset:960
	global_load_dwordx4 v[28:31], v[56:57], off offset:1120
	global_load_dwordx4 v[8:11], v[56:57], off offset:1280
	global_load_dwordx4 v[36:39], v[56:57], off offset:1440
	global_load_dwordx4 v[44:47], v[56:57], off offset:1600
	global_load_dwordx4 v[40:43], v[56:57], off offset:1760
	global_load_dwordx4 v[52:55], v[56:57], off offset:1920
	global_load_dwordx4 v[48:51], v[56:57], off offset:2080
	global_load_dwordx4 v[60:63], v[56:57], off offset:2240
	s_nop 0
	global_load_dwordx4 v[56:59], v[56:57], off offset:2400
.LBB0_12:
	s_or_b64 exec, exec, s[6:7]
	v_mov_b32_e32 v80, v81
.LBB0_13:
	s_or_b64 exec, exec, s[4:5]
	s_waitcnt vmcnt(5)
	v_add_f64 v[70:71], v[22:23], -v[46:47]
	s_waitcnt vmcnt(1)
	v_add_f64 v[60:61], v[32:33], -v[60:61]
	v_add_f64 v[62:63], v[34:35], -v[62:63]
	;; [unrolled: 1-line block ×7, first 2 shown]
	v_fma_f64 v[36:37], v[22:23], 2.0, -v[70:71]
	v_fma_f64 v[22:23], v[32:33], 2.0, -v[60:61]
	;; [unrolled: 1-line block ×3, first 2 shown]
	v_add_f64 v[34:35], v[24:25], -v[48:49]
	v_fma_f64 v[14:15], v[14:15], 2.0, -v[38:39]
	v_add_f64 v[40:41], v[16:17], -v[40:41]
	v_add_f64 v[42:43], v[18:19], -v[42:43]
	s_waitcnt vmcnt(0)
	v_add_f64 v[56:57], v[28:29], -v[56:57]
	v_add_f64 v[58:59], v[30:31], -v[58:59]
	v_fma_f64 v[26:27], v[26:27], 2.0, -v[50:51]
	v_fma_f64 v[20:21], v[20:21], 2.0, -v[68:69]
	;; [unrolled: 1-line block ×4, first 2 shown]
	v_add_f64 v[62:63], v[68:69], v[62:63]
	v_add_f64 v[60:61], v[70:71], -v[60:61]
	v_fma_f64 v[16:17], v[16:17], 2.0, -v[40:41]
	v_fma_f64 v[18:19], v[18:19], 2.0, -v[42:43]
	v_fma_f64 v[28:29], v[28:29], 2.0, -v[56:57]
	v_fma_f64 v[30:31], v[30:31], 2.0, -v[58:59]
	v_add_f64 v[26:27], v[14:15], -v[26:27]
	v_add_f64 v[83:84], v[50:51], v[52:53]
	v_add_f64 v[85:86], v[38:39], -v[34:35]
	v_add_f64 v[34:35], v[40:41], v[58:59]
	v_add_f64 v[50:51], v[42:43], -v[56:57]
	v_add_f64 v[46:47], v[6:7], -v[54:55]
	;; [unrolled: 1-line block ×4, first 2 shown]
	v_fma_f64 v[22:23], v[68:69], 2.0, -v[62:63]
	v_fma_f64 v[32:33], v[70:71], 2.0, -v[60:61]
	v_add_f64 v[24:25], v[12:13], -v[24:25]
	v_add_f64 v[28:29], v[16:17], -v[28:29]
	;; [unrolled: 1-line block ×3, first 2 shown]
	v_fma_f64 v[68:69], v[14:15], 2.0, -v[26:27]
	v_fma_f64 v[14:15], v[52:53], 2.0, -v[83:84]
	v_fma_f64 v[38:39], v[38:39], 2.0, -v[85:86]
	v_fma_f64 v[52:53], v[40:41], 2.0, -v[34:35]
	v_fma_f64 v[40:41], v[42:43], 2.0, -v[50:51]
	s_mov_b32 s0, 0x667f3bcd
	s_mov_b32 s1, 0x3fe6a09e
	;; [unrolled: 1-line block ×4, first 2 shown]
	v_mul_f64 v[70:71], v[22:23], s[0:1]
	v_mul_f64 v[72:73], v[32:33], s[0:1]
	v_fma_f64 v[22:23], v[52:53], s[4:5], v[14:15]
	v_fma_f64 v[32:33], v[40:41], s[4:5], v[38:39]
	;; [unrolled: 1-line block ×4, first 2 shown]
	v_add_f64 v[87:88], v[30:31], v[24:25]
	v_add_f64 v[89:90], v[26:27], -v[28:29]
	v_fma_f64 v[12:13], v[12:13], 2.0, -v[24:25]
	v_fma_f64 v[16:17], v[16:17], 2.0, -v[28:29]
	;; [unrolled: 1-line block ×3, first 2 shown]
	v_fma_f64 v[40:41], v[40:41], s[0:1], v[22:23]
	v_fma_f64 v[56:57], v[52:53], s[4:5], v[32:33]
	;; [unrolled: 1-line block ×4, first 2 shown]
	v_fma_f64 v[22:23], v[24:25], 2.0, -v[87:88]
	v_fma_f64 v[24:25], v[26:27], 2.0, -v[89:90]
	v_mul_f64 v[74:75], v[62:63], s[0:1]
	v_mul_f64 v[76:77], v[60:61], s[0:1]
	v_add_f64 v[34:35], v[12:13], -v[16:17]
	v_add_f64 v[78:79], v[68:69], -v[18:19]
	v_fma_f64 v[30:31], v[14:15], 2.0, -v[40:41]
	v_fma_f64 v[50:51], v[38:39], 2.0, -v[56:57]
	;; [unrolled: 1-line block ×4, first 2 shown]
	v_mul_f64 v[38:39], v[22:23], s[0:1]
	v_mul_f64 v[58:59], v[24:25], s[0:1]
	;; [unrolled: 1-line block ×4, first 2 shown]
	v_mul_u32_u24_e32 v14, 0xa0, v82
	v_cmp_gt_u32_e64 s[0:1], 10, v81
	v_lshlrev_b32_e32 v82, 3, v14
	s_and_saveexec_b64 s[4:5], s[0:1]
	s_cbranch_execz .LBB0_15
; %bb.14:
	v_add_f64 v[8:9], v[0:1], -v[8:9]
	v_fma_f64 v[4:5], v[4:5], 2.0, -v[44:45]
	v_fma_f64 v[18:19], v[20:21], 2.0, -v[48:49]
	s_mov_b32 s8, 0xa6aea964
	s_mov_b32 s9, 0x3fd87de2
	;; [unrolled: 1-line block ×5, first 2 shown]
	v_add_f64 v[14:15], v[46:47], v[8:9]
	v_fma_f64 v[0:1], v[0:1], 2.0, -v[8:9]
	s_mov_b32 s6, 0xcf328d46
	v_fma_f64 v[24:25], v[12:13], 2.0, -v[34:35]
	v_lshlrev_b32_e32 v99, 7, v81
	v_add_f64 v[16:17], v[74:75], v[14:15]
	v_fma_f64 v[8:9], v[8:9], 2.0, -v[14:15]
	v_add_f64 v[4:5], v[0:1], -v[4:5]
	v_add_f64 v[83:84], v[76:77], v[16:17]
	v_add_f64 v[16:17], v[8:9], -v[70:71]
	v_add_f64 v[87:88], v[54:55], v[4:5]
	v_fma_f64 v[0:1], v[0:1], 2.0, -v[4:5]
	v_fma_f64 v[89:90], v[14:15], 2.0, -v[83:84]
	v_add_f64 v[95:96], v[72:73], v[16:17]
	v_fma_f64 v[4:5], v[4:5], 2.0, -v[87:88]
	v_add_f64 v[91:92], v[0:1], -v[18:19]
	v_fma_f64 v[12:13], v[28:29], s[6:7], v[83:84]
	v_add_f64 v[20:21], v[42:43], v[87:88]
	v_fma_f64 v[14:15], v[52:53], s[14:15], v[89:90]
	v_fma_f64 v[16:17], v[40:41], s[8:9], v[95:96]
	v_fma_f64 v[8:9], v[8:9], 2.0, -v[95:96]
	v_add_f64 v[26:27], v[4:5], -v[38:39]
	v_fma_f64 v[0:1], v[0:1], 2.0, -v[91:92]
	v_fma_f64 v[22:23], v[32:33], s[8:9], v[12:13]
	v_add_f64 v[20:21], v[60:61], v[20:21]
	v_fma_f64 v[14:15], v[62:63], s[6:7], v[14:15]
	v_fma_f64 v[18:19], v[56:57], s[6:7], v[16:17]
	s_mov_b32 s7, 0xbfed906b
	v_fma_f64 v[85:86], v[30:31], s[6:7], v[8:9]
	v_add_f64 v[16:17], v[78:79], v[91:92]
	v_add_f64 v[12:13], v[58:59], v[26:27]
	v_add_f64 v[24:25], v[0:1], -v[24:25]
	v_fma_f64 v[93:94], v[89:90], 2.0, -v[14:15]
	v_fma_f64 v[89:90], v[95:96], 2.0, -v[18:19]
	v_fma_f64 v[26:27], v[50:51], s[8:9], v[85:86]
	v_fma_f64 v[85:86], v[83:84], 2.0, -v[22:23]
	v_fma_f64 v[83:84], v[87:88], 2.0, -v[20:21]
	;; [unrolled: 1-line block ×5, first 2 shown]
	v_add3_u32 v0, 0, v99, v82
	v_fma_f64 v[97:98], v[8:9], 2.0, -v[26:27]
	ds_write_b128 v0, v[83:86] offset:48
	ds_write_b128 v0, v[12:15] offset:80
	;; [unrolled: 1-line block ×6, first 2 shown]
	ds_write_b128 v0, v[95:98]
	ds_write_b128 v0, v[20:23] offset:112
.LBB0_15:
	s_or_b64 exec, exec, s[4:5]
	v_lshlrev_b32_e32 v0, 3, v81
	v_add_u32_e32 v83, 0, v0
	v_add_u32_e32 v9, v83, v82
	s_waitcnt lgkmcnt(0)
	s_barrier
	v_add3_u32 v8, 0, v82, v0
	ds_read2_b64 v[20:23], v9 offset0:16 offset1:32
	ds_read2_b64 v[12:15], v9 offset0:48 offset1:64
	;; [unrolled: 1-line block ×4, first 2 shown]
	ds_read_b64 v[0:1], v8
	ds_read_b64 v[4:5], v9 offset:1152
	s_waitcnt lgkmcnt(0)
	s_barrier
	s_and_saveexec_b64 s[4:5], s[0:1]
	s_cbranch_execz .LBB0_17
; %bb.16:
	v_add_f64 v[10:11], v[2:3], -v[10:11]
	v_fma_f64 v[6:7], v[6:7], 2.0, -v[46:47]
	v_fma_f64 v[36:37], v[36:37], 2.0, -v[54:55]
	;; [unrolled: 1-line block ×3, first 2 shown]
	s_mov_b32 s0, 0xa6aea964
	s_mov_b32 s1, 0xbfd87de2
	;; [unrolled: 1-line block ×4, first 2 shown]
	v_add_f64 v[44:45], v[10:11], -v[44:45]
	v_fma_f64 v[2:3], v[2:3], 2.0, -v[10:11]
	v_fma_f64 v[10:11], v[10:11], 2.0, -v[44:45]
	v_add_f64 v[46:47], v[44:45], v[76:77]
	v_add_f64 v[6:7], v[2:3], -v[6:7]
	v_add_f64 v[72:73], v[10:11], -v[72:73]
	;; [unrolled: 1-line block ×4, first 2 shown]
	v_fma_f64 v[2:3], v[2:3], 2.0, -v[6:7]
	v_add_f64 v[70:71], v[72:73], -v[70:71]
	v_fma_f64 v[72:73], v[44:45], 2.0, -v[74:75]
	v_fma_f64 v[6:7], v[6:7], 2.0, -v[68:69]
	v_add_f64 v[76:77], v[2:3], -v[36:37]
	v_add_f64 v[48:49], v[60:61], v[68:69]
	v_fma_f64 v[10:11], v[10:11], 2.0, -v[70:71]
	v_fma_f64 v[36:37], v[62:63], s[0:1], v[72:73]
	v_fma_f64 v[44:45], v[56:57], s[6:7], v[70:71]
	v_add_f64 v[56:57], v[6:7], -v[58:59]
	s_mov_b32 s7, 0xbfed906b
	s_mov_b32 s6, 0xcf328d46
	v_fma_f64 v[2:3], v[2:3], 2.0, -v[76:77]
	v_fma_f64 v[50:51], v[50:51], s[6:7], v[10:11]
	v_fma_f64 v[36:37], v[52:53], s[6:7], v[36:37]
	;; [unrolled: 1-line block ×3, first 2 shown]
	s_mov_b32 s7, 0x3fed906b
	v_fma_f64 v[32:33], v[32:33], s[6:7], v[74:75]
	v_add_f64 v[44:45], v[76:77], -v[34:35]
	v_add_f64 v[34:35], v[56:57], -v[38:39]
	;; [unrolled: 1-line block ×4, first 2 shown]
	v_fma_f64 v[50:51], v[30:31], s[0:1], v[50:51]
	v_fma_f64 v[58:59], v[72:73], 2.0, -v[36:37]
	v_fma_f64 v[30:31], v[70:71], 2.0, -v[46:47]
	v_fma_f64 v[42:43], v[28:29], s[0:1], v[32:33]
	v_fma_f64 v[28:29], v[76:77], 2.0, -v[44:45]
	v_fma_f64 v[56:57], v[6:7], 2.0, -v[34:35]
	v_mul_u32_u24_e32 v38, 0x78, v81
	v_fma_f64 v[60:61], v[2:3], 2.0, -v[48:49]
	v_fma_f64 v[62:63], v[10:11], 2.0, -v[50:51]
	;; [unrolled: 1-line block ×3, first 2 shown]
	v_add3_u32 v2, v83, v38, v82
	v_fma_f64 v[54:55], v[74:75], 2.0, -v[42:43]
	ds_write_b128 v2, v[34:37] offset:80
	ds_write_b128 v2, v[44:47] offset:96
	;; [unrolled: 1-line block ×5, first 2 shown]
	ds_write_b128 v2, v[60:63]
	ds_write_b128 v2, v[52:55] offset:48
	ds_write_b128 v2, v[40:43] offset:112
.LBB0_17:
	s_or_b64 exec, exec, s[4:5]
	s_waitcnt lgkmcnt(0)
	s_barrier
	s_and_saveexec_b64 s[0:1], vcc
	s_cbranch_execz .LBB0_19
; %bb.18:
	v_mul_u32_u24_e32 v2, 9, v81
	v_lshlrev_b32_e32 v2, 4, v2
	global_load_dwordx4 v[28:31], v2, s[12:13] offset:16
	global_load_dwordx4 v[32:35], v2, s[12:13] offset:48
	;; [unrolled: 1-line block ×8, first 2 shown]
	global_load_dwordx4 v[60:63], v2, s[12:13]
	v_mul_lo_u32 v10, s3, v66
	v_mul_lo_u32 v11, s2, v67
	v_mad_u64_u32 v[78:79], s[0:1], s2, v66, 0
	ds_read2_b64 v[66:69], v9 offset0:16 offset1:32
	ds_read2_b64 v[70:73], v9 offset0:48 offset1:64
	;; [unrolled: 1-line block ×4, first 2 shown]
	ds_read_b64 v[2:3], v8
	ds_read_b64 v[6:7], v9 offset:1152
	v_add3_u32 v79, v79, v11, v10
	s_mov_b32 s4, 0x134454ff
	s_mov_b32 s5, 0xbfee6f0e
	s_mov_b32 s9, 0x3fee6f0e
	s_mov_b32 s8, s4
	s_mov_b32 s2, 0x4755a5e
	s_mov_b32 s3, 0xbfe2cf23
	s_mov_b32 s7, 0x3fe2cf23
	s_mov_b32 s6, s2
	s_mov_b32 s0, 0x372fe950
	s_mov_b32 s1, 0x3fd3c6ef
	s_mov_b32 s12, 0x9b97f4a8
	s_mov_b32 s13, 0xbfe9e377
	s_mov_b32 s17, 0x3fe9e377
	s_mov_b32 s16, s12
	s_mov_b32 s15, 0xbfd3c6ef
	s_mov_b32 s14, s0
	s_waitcnt vmcnt(8)
	v_mul_f64 v[8:9], v[22:23], v[30:31]
	s_waitcnt vmcnt(7)
	v_mul_f64 v[10:11], v[14:15], v[34:35]
	;; [unrolled: 2-line block ×4, first 2 shown]
	s_waitcnt lgkmcnt(5)
	v_mul_f64 v[30:31], v[68:69], v[30:31]
	s_waitcnt lgkmcnt(4)
	v_mul_f64 v[34:35], v[72:73], v[34:35]
	s_waitcnt vmcnt(4)
	v_mul_f64 v[89:90], v[12:13], v[44:45]
	s_waitcnt vmcnt(3)
	v_mul_f64 v[91:92], v[16:17], v[48:49]
	s_waitcnt vmcnt(2)
	v_mul_f64 v[93:94], v[4:5], v[52:53]
	s_waitcnt vmcnt(1)
	v_mul_f64 v[95:96], v[24:25], v[56:57]
	v_mul_f64 v[16:17], v[16:17], v[50:51]
	;; [unrolled: 1-line block ×5, first 2 shown]
	s_waitcnt lgkmcnt(3)
	v_mul_f64 v[38:39], v[76:77], v[38:39]
	s_waitcnt lgkmcnt(2)
	v_mul_f64 v[42:43], v[83:84], v[42:43]
	s_waitcnt vmcnt(0)
	v_mul_f64 v[97:98], v[20:21], v[60:61]
	v_mul_f64 v[20:21], v[20:21], v[62:63]
	v_fma_f64 v[8:9], v[68:69], v[28:29], -v[8:9]
	v_fma_f64 v[10:11], v[72:73], v[32:33], -v[10:11]
	;; [unrolled: 1-line block ×4, first 2 shown]
	v_fma_f64 v[22:23], v[22:23], v[28:29], v[30:31]
	v_fma_f64 v[14:15], v[14:15], v[32:33], v[34:35]
	;; [unrolled: 1-line block ×4, first 2 shown]
	s_waitcnt lgkmcnt(0)
	v_fma_f64 v[32:33], v[6:7], v[54:55], v[93:94]
	v_fma_f64 v[34:35], v[74:75], v[58:59], v[95:96]
	v_fma_f64 v[16:17], v[81:82], v[48:49], -v[16:17]
	v_fma_f64 v[24:25], v[74:75], v[56:57], -v[24:25]
	;; [unrolled: 1-line block ×4, first 2 shown]
	v_fma_f64 v[26:27], v[26:27], v[36:37], v[38:39]
	v_fma_f64 v[18:19], v[18:19], v[40:41], v[42:43]
	;; [unrolled: 1-line block ×3, first 2 shown]
	v_fma_f64 v[6:7], v[66:67], v[60:61], -v[20:21]
	v_add_f64 v[20:21], v[8:9], -v[10:11]
	v_add_f64 v[38:39], v[68:69], -v[72:73]
	v_add_f64 v[40:41], v[10:11], v[72:73]
	v_add_f64 v[46:47], v[28:29], -v[30:31]
	v_add_f64 v[48:49], v[32:33], -v[34:35]
	v_add_f64 v[52:53], v[30:31], v[34:35]
	v_add_f64 v[60:61], v[16:17], v[24:25]
	;; [unrolled: 1-line block ×3, first 2 shown]
	v_add_f64 v[54:55], v[12:13], -v[4:5]
	v_add_f64 v[56:57], v[12:13], -v[16:17]
	;; [unrolled: 1-line block ×4, first 2 shown]
	v_add_f64 v[76:77], v[8:9], v[68:69]
	v_add_f64 v[81:82], v[30:31], -v[28:29]
	v_add_f64 v[83:84], v[34:35], -v[32:33]
	v_add_f64 v[85:86], v[28:29], v[32:33]
	v_add_f64 v[87:88], v[16:17], -v[12:13]
	v_add_f64 v[12:13], v[12:13], v[6:7]
	v_add_f64 v[20:21], v[20:21], v[38:39]
	v_fma_f64 v[38:39], v[40:41], -0.5, v[2:3]
	v_add_f64 v[40:41], v[46:47], v[48:49]
	v_fma_f64 v[46:47], v[52:53], -0.5, v[36:37]
	v_fma_f64 v[52:53], v[60:61], -0.5, v[6:7]
	;; [unrolled: 1-line block ×3, first 2 shown]
	v_add_f64 v[44:45], v[14:15], -v[18:19]
	v_add_f64 v[50:51], v[16:17], -v[24:25]
	;; [unrolled: 1-line block ×6, first 2 shown]
	v_add_f64 v[93:94], v[8:9], v[2:3]
	v_add_f64 v[48:49], v[56:57], v[58:59]
	v_fma_f64 v[2:3], v[76:77], -0.5, v[2:3]
	v_add_f64 v[58:59], v[81:82], v[83:84]
	v_fma_f64 v[60:61], v[85:86], -0.5, v[36:37]
	v_fma_f64 v[81:82], v[66:67], s[8:9], v[6:7]
	v_fma_f64 v[6:7], v[66:67], s[4:5], v[6:7]
	v_add_f64 v[42:43], v[22:23], -v[26:27]
	v_add_f64 v[56:57], v[70:71], v[74:75]
	v_add_f64 v[70:71], v[87:88], v[89:90]
	v_fma_f64 v[76:77], v[62:63], s[4:5], v[52:53]
	v_fma_f64 v[85:86], v[54:55], s[8:9], v[46:47]
	v_fma_f64 v[87:88], v[44:45], s[8:9], v[2:3]
	v_fma_f64 v[89:90], v[50:51], s[4:5], v[60:61]
	v_fma_f64 v[2:3], v[44:45], s[4:5], v[2:3]
	v_fma_f64 v[60:61], v[50:51], s[8:9], v[60:61]
	v_fma_f64 v[46:47], v[54:55], s[4:5], v[46:47]
	v_fma_f64 v[52:53], v[62:63], s[8:9], v[52:53]
	v_fma_f64 v[6:7], v[62:63], s[6:7], v[6:7]
	v_add_f64 v[74:75], v[10:11], v[93:94]
	v_fma_f64 v[83:84], v[42:43], s[4:5], v[38:39]
	v_fma_f64 v[76:77], v[66:67], s[2:3], v[76:77]
	;; [unrolled: 1-line block ×11, first 2 shown]
	v_add_f64 v[12:13], v[16:17], v[12:13]
	v_add_f64 v[95:96], v[14:15], v[18:19]
	v_fma_f64 v[76:77], v[48:49], s[0:1], v[76:77]
	v_fma_f64 v[83:84], v[44:45], s[2:3], v[83:84]
	;; [unrolled: 1-line block ×9, first 2 shown]
	v_mul_f64 v[48:49], v[66:67], s[0:1]
	v_add_f64 v[56:57], v[72:73], v[74:75]
	v_add_f64 v[12:13], v[24:25], v[12:13]
	v_add_f64 v[10:11], v[10:11], -v[72:73]
	v_add_f64 v[72:73], v[22:23], v[26:27]
	v_fma_f64 v[81:82], v[62:63], s[2:3], v[81:82]
	v_mul_f64 v[85:86], v[76:77], s[12:13]
	v_add_f64 v[8:9], v[8:9], -v[68:69]
	v_fma_f64 v[50:51], v[95:96], -0.5, v[0:1]
	v_fma_f64 v[24:25], v[54:55], s[8:9], v[48:49]
	v_add_f64 v[48:49], v[68:69], v[56:57]
	v_add_f64 v[68:69], v[4:5], v[12:13]
	v_mul_f64 v[4:5], v[76:77], s[2:3]
	v_fma_f64 v[62:63], v[58:59], s[0:1], v[89:90]
	v_add_f64 v[58:59], v[22:23], -v[14:15]
	v_fma_f64 v[56:57], v[72:73], -0.5, v[0:1]
	v_add_f64 v[12:13], v[14:15], -v[22:23]
	v_add_f64 v[0:1], v[0:1], v[22:23]
	v_add_f64 v[22:23], v[28:29], v[36:37]
	v_fma_f64 v[81:82], v[70:71], s[0:1], v[81:82]
	v_fma_f64 v[70:71], v[42:43], s[6:7], v[85:86]
	v_mul_f64 v[16:17], v[46:47], s[16:17]
	v_add_f64 v[74:75], v[26:27], -v[18:19]
	v_fma_f64 v[85:86], v[8:9], s[8:9], v[50:51]
	v_fma_f64 v[42:43], v[42:43], s[12:13], v[4:5]
	;; [unrolled: 1-line block ×4, first 2 shown]
	v_add_f64 v[0:1], v[0:1], v[14:15]
	v_add_f64 v[14:15], v[30:31], v[22:23]
	v_add_f64 v[72:73], v[18:19], -v[26:27]
	v_fma_f64 v[56:57], v[10:11], s[8:9], v[56:57]
	v_fma_f64 v[52:53], v[20:21], s[0:1], v[83:84]
	;; [unrolled: 1-line block ×4, first 2 shown]
	v_add_f64 v[16:17], v[58:59], v[74:75]
	v_fma_f64 v[58:59], v[10:11], s[6:7], v[85:86]
	v_fma_f64 v[4:5], v[10:11], s[2:3], v[4:5]
	v_mul_f64 v[10:11], v[46:47], s[2:3]
	v_mul_f64 v[89:90], v[81:82], s[14:15]
	v_fma_f64 v[22:23], v[8:9], s[6:7], v[28:29]
	v_mul_f64 v[28:29], v[81:82], s[4:5]
	v_add_f64 v[0:1], v[0:1], v[18:19]
	v_add_f64 v[14:15], v[34:35], v[14:15]
	v_add_f64 v[12:13], v[12:13], v[72:73]
	v_fma_f64 v[8:9], v[8:9], s[2:3], v[56:57]
	v_mul_f64 v[30:31], v[66:67], s[4:5]
	v_fma_f64 v[56:57], v[16:17], s[0:1], v[4:5]
	v_fma_f64 v[40:41], v[40:41], s[16:17], v[10:11]
	;; [unrolled: 1-line block ×5, first 2 shown]
	v_add_f64 v[58:59], v[26:27], v[0:1]
	v_add_f64 v[62:63], v[32:33], v[14:15]
	v_fma_f64 v[46:47], v[12:13], s[0:1], v[22:23]
	v_fma_f64 v[50:51], v[12:13], s[0:1], v[8:9]
	;; [unrolled: 1-line block ×3, first 2 shown]
	v_add_f64 v[12:13], v[56:57], -v[40:41]
	v_add_f64 v[32:33], v[56:57], v[40:41]
	v_lshlrev_b64 v[40:41], 4, v[78:79]
	v_add_f64 v[14:15], v[20:21], -v[38:39]
	v_add_f64 v[0:1], v[36:37], -v[42:43]
	v_add_f64 v[34:35], v[20:21], v[38:39]
	v_add_f64 v[38:39], v[48:49], v[68:69]
	;; [unrolled: 1-line block ×4, first 2 shown]
	v_mov_b32_e32 v42, s11
	v_add_co_u32_e32 v43, vcc, s10, v40
	v_add_f64 v[10:11], v[44:45], -v[24:25]
	v_add_f64 v[4:5], v[46:47], -v[28:29]
	v_add_f64 v[30:31], v[44:45], v[24:25]
	v_add_f64 v[24:25], v[46:47], v[28:29]
	v_add_f64 v[28:29], v[50:51], v[54:55]
	v_addc_co_u32_e32 v42, vcc, v42, v41, vcc
	v_lshlrev_b64 v[40:41], 4, v[64:65]
	v_add_f64 v[26:27], v[60:61], v[83:84]
	v_add_f64 v[22:23], v[52:53], v[70:71]
	v_add_co_u32_e32 v40, vcc, v43, v40
	v_add_f64 v[18:19], v[48:49], -v[68:69]
	v_add_f64 v[16:17], v[58:59], -v[62:63]
	v_addc_co_u32_e32 v41, vcc, v42, v41, vcc
	v_lshlrev_b32_e32 v42, 4, v80
	v_add_co_u32_e32 v40, vcc, v40, v42
	v_add_f64 v[8:9], v[50:51], -v[54:55]
	v_addc_co_u32_e32 v41, vcc, 0, v41, vcc
	v_add_f64 v[2:3], v[52:53], -v[70:71]
	v_add_f64 v[6:7], v[60:61], -v[83:84]
	global_store_dwordx4 v[40:41], v[36:39], off
	global_store_dwordx4 v[40:41], v[32:35], off offset:256
	global_store_dwordx4 v[40:41], v[28:31], off offset:512
	;; [unrolled: 1-line block ×9, first 2 shown]
.LBB0_19:
	s_endpgm
	.section	.rodata,"a",@progbits
	.p2align	6, 0x0
	.amdhsa_kernel fft_rtc_back_len160_factors_16_10_wgs_256_tpt_16_halfLds_dp_op_CI_CI_unitstride_sbrr_dirReg
		.amdhsa_group_segment_fixed_size 0
		.amdhsa_private_segment_fixed_size 0
		.amdhsa_kernarg_size 104
		.amdhsa_user_sgpr_count 6
		.amdhsa_user_sgpr_private_segment_buffer 1
		.amdhsa_user_sgpr_dispatch_ptr 0
		.amdhsa_user_sgpr_queue_ptr 0
		.amdhsa_user_sgpr_kernarg_segment_ptr 1
		.amdhsa_user_sgpr_dispatch_id 0
		.amdhsa_user_sgpr_flat_scratch_init 0
		.amdhsa_user_sgpr_private_segment_size 0
		.amdhsa_uses_dynamic_stack 0
		.amdhsa_system_sgpr_private_segment_wavefront_offset 0
		.amdhsa_system_sgpr_workgroup_id_x 1
		.amdhsa_system_sgpr_workgroup_id_y 0
		.amdhsa_system_sgpr_workgroup_id_z 0
		.amdhsa_system_sgpr_workgroup_info 0
		.amdhsa_system_vgpr_workitem_id 0
		.amdhsa_next_free_vgpr 100
		.amdhsa_next_free_sgpr 28
		.amdhsa_reserve_vcc 1
		.amdhsa_reserve_flat_scratch 0
		.amdhsa_float_round_mode_32 0
		.amdhsa_float_round_mode_16_64 0
		.amdhsa_float_denorm_mode_32 3
		.amdhsa_float_denorm_mode_16_64 3
		.amdhsa_dx10_clamp 1
		.amdhsa_ieee_mode 1
		.amdhsa_fp16_overflow 0
		.amdhsa_exception_fp_ieee_invalid_op 0
		.amdhsa_exception_fp_denorm_src 0
		.amdhsa_exception_fp_ieee_div_zero 0
		.amdhsa_exception_fp_ieee_overflow 0
		.amdhsa_exception_fp_ieee_underflow 0
		.amdhsa_exception_fp_ieee_inexact 0
		.amdhsa_exception_int_div_zero 0
	.end_amdhsa_kernel
	.text
.Lfunc_end0:
	.size	fft_rtc_back_len160_factors_16_10_wgs_256_tpt_16_halfLds_dp_op_CI_CI_unitstride_sbrr_dirReg, .Lfunc_end0-fft_rtc_back_len160_factors_16_10_wgs_256_tpt_16_halfLds_dp_op_CI_CI_unitstride_sbrr_dirReg
                                        ; -- End function
	.section	.AMDGPU.csdata,"",@progbits
; Kernel info:
; codeLenInByte = 5040
; NumSgprs: 32
; NumVgprs: 100
; ScratchSize: 0
; MemoryBound: 1
; FloatMode: 240
; IeeeMode: 1
; LDSByteSize: 0 bytes/workgroup (compile time only)
; SGPRBlocks: 3
; VGPRBlocks: 24
; NumSGPRsForWavesPerEU: 32
; NumVGPRsForWavesPerEU: 100
; Occupancy: 2
; WaveLimiterHint : 1
; COMPUTE_PGM_RSRC2:SCRATCH_EN: 0
; COMPUTE_PGM_RSRC2:USER_SGPR: 6
; COMPUTE_PGM_RSRC2:TRAP_HANDLER: 0
; COMPUTE_PGM_RSRC2:TGID_X_EN: 1
; COMPUTE_PGM_RSRC2:TGID_Y_EN: 0
; COMPUTE_PGM_RSRC2:TGID_Z_EN: 0
; COMPUTE_PGM_RSRC2:TIDIG_COMP_CNT: 0
	.type	__hip_cuid_c03a622f02859e30,@object ; @__hip_cuid_c03a622f02859e30
	.section	.bss,"aw",@nobits
	.globl	__hip_cuid_c03a622f02859e30
__hip_cuid_c03a622f02859e30:
	.byte	0                               ; 0x0
	.size	__hip_cuid_c03a622f02859e30, 1

	.ident	"AMD clang version 19.0.0git (https://github.com/RadeonOpenCompute/llvm-project roc-6.4.0 25133 c7fe45cf4b819c5991fe208aaa96edf142730f1d)"
	.section	".note.GNU-stack","",@progbits
	.addrsig
	.addrsig_sym __hip_cuid_c03a622f02859e30
	.amdgpu_metadata
---
amdhsa.kernels:
  - .args:
      - .actual_access:  read_only
        .address_space:  global
        .offset:         0
        .size:           8
        .value_kind:     global_buffer
      - .offset:         8
        .size:           8
        .value_kind:     by_value
      - .actual_access:  read_only
        .address_space:  global
        .offset:         16
        .size:           8
        .value_kind:     global_buffer
      - .actual_access:  read_only
        .address_space:  global
        .offset:         24
        .size:           8
        .value_kind:     global_buffer
      - .actual_access:  read_only
        .address_space:  global
        .offset:         32
        .size:           8
        .value_kind:     global_buffer
      - .offset:         40
        .size:           8
        .value_kind:     by_value
      - .actual_access:  read_only
        .address_space:  global
        .offset:         48
        .size:           8
        .value_kind:     global_buffer
      - .actual_access:  read_only
        .address_space:  global
        .offset:         56
        .size:           8
        .value_kind:     global_buffer
      - .offset:         64
        .size:           4
        .value_kind:     by_value
      - .actual_access:  read_only
        .address_space:  global
        .offset:         72
        .size:           8
        .value_kind:     global_buffer
      - .actual_access:  read_only
        .address_space:  global
        .offset:         80
        .size:           8
        .value_kind:     global_buffer
      - .actual_access:  read_only
        .address_space:  global
        .offset:         88
        .size:           8
        .value_kind:     global_buffer
      - .actual_access:  write_only
        .address_space:  global
        .offset:         96
        .size:           8
        .value_kind:     global_buffer
    .group_segment_fixed_size: 0
    .kernarg_segment_align: 8
    .kernarg_segment_size: 104
    .language:       OpenCL C
    .language_version:
      - 2
      - 0
    .max_flat_workgroup_size: 256
    .name:           fft_rtc_back_len160_factors_16_10_wgs_256_tpt_16_halfLds_dp_op_CI_CI_unitstride_sbrr_dirReg
    .private_segment_fixed_size: 0
    .sgpr_count:     32
    .sgpr_spill_count: 0
    .symbol:         fft_rtc_back_len160_factors_16_10_wgs_256_tpt_16_halfLds_dp_op_CI_CI_unitstride_sbrr_dirReg.kd
    .uniform_work_group_size: 1
    .uses_dynamic_stack: false
    .vgpr_count:     100
    .vgpr_spill_count: 0
    .wavefront_size: 64
amdhsa.target:   amdgcn-amd-amdhsa--gfx906
amdhsa.version:
  - 1
  - 2
...

	.end_amdgpu_metadata
